;; amdgpu-corpus repo=ROCm/rocFFT kind=compiled arch=gfx1100 opt=O3
	.text
	.amdgcn_target "amdgcn-amd-amdhsa--gfx1100"
	.amdhsa_code_object_version 6
	.protected	fft_rtc_back_len363_factors_11_3_11_wgs_99_tpt_33_halfLds_dp_ip_CI_unitstride_sbrr_dirReg ; -- Begin function fft_rtc_back_len363_factors_11_3_11_wgs_99_tpt_33_halfLds_dp_ip_CI_unitstride_sbrr_dirReg
	.globl	fft_rtc_back_len363_factors_11_3_11_wgs_99_tpt_33_halfLds_dp_ip_CI_unitstride_sbrr_dirReg
	.p2align	8
	.type	fft_rtc_back_len363_factors_11_3_11_wgs_99_tpt_33_halfLds_dp_ip_CI_unitstride_sbrr_dirReg,@function
fft_rtc_back_len363_factors_11_3_11_wgs_99_tpt_33_halfLds_dp_ip_CI_unitstride_sbrr_dirReg: ; @fft_rtc_back_len363_factors_11_3_11_wgs_99_tpt_33_halfLds_dp_ip_CI_unitstride_sbrr_dirReg
; %bb.0:
	s_load_b128 s[4:7], s[0:1], 0x0
	v_mul_u32_u24_e32 v1, 0x7c2, v0
	s_clause 0x1
	s_load_b64 s[8:9], s[0:1], 0x50
	s_load_b64 s[10:11], s[0:1], 0x18
	s_delay_alu instid0(VALU_DEP_1) | instskip(SKIP_1) | instid1(VALU_DEP_2)
	v_lshrrev_b32_e32 v2, 16, v1
	v_mov_b32_e32 v1, 0
	v_mad_u64_u32 v[44:45], null, s15, 3, v[2:3]
	v_mov_b32_e32 v3, 0
	s_delay_alu instid0(VALU_DEP_3) | instskip(NEXT) | instid1(VALU_DEP_1)
	v_dual_mov_b32 v4, 0 :: v_dual_mov_b32 v45, v1
	v_dual_mov_b32 v7, v44 :: v_dual_mov_b32 v8, v45
	s_waitcnt lgkmcnt(0)
	v_cmp_lt_u64_e64 s2, s[6:7], 2
	s_delay_alu instid0(VALU_DEP_1)
	s_and_b32 vcc_lo, exec_lo, s2
	s_cbranch_vccnz .LBB0_8
; %bb.1:
	s_load_b64 s[2:3], s[0:1], 0x10
	v_mov_b32_e32 v3, 0
	v_dual_mov_b32 v4, 0 :: v_dual_mov_b32 v5, v44
	s_add_u32 s12, s10, 8
	v_mov_b32_e32 v6, v45
	s_addc_u32 s13, s11, 0
	s_mov_b64 s[16:17], 1
	s_waitcnt lgkmcnt(0)
	s_add_u32 s14, s2, 8
	s_addc_u32 s15, s3, 0
.LBB0_2:                                ; =>This Inner Loop Header: Depth=1
	s_load_b64 s[18:19], s[14:15], 0x0
                                        ; implicit-def: $vgpr7_vgpr8
	s_mov_b32 s2, exec_lo
	s_waitcnt lgkmcnt(0)
	v_or_b32_e32 v2, s19, v6
	s_delay_alu instid0(VALU_DEP_1)
	v_cmpx_ne_u64_e32 0, v[1:2]
	s_xor_b32 s3, exec_lo, s2
	s_cbranch_execz .LBB0_4
; %bb.3:                                ;   in Loop: Header=BB0_2 Depth=1
	v_cvt_f32_u32_e32 v2, s18
	v_cvt_f32_u32_e32 v7, s19
	s_sub_u32 s2, 0, s18
	s_subb_u32 s20, 0, s19
	s_delay_alu instid0(VALU_DEP_1) | instskip(NEXT) | instid1(VALU_DEP_1)
	v_fmac_f32_e32 v2, 0x4f800000, v7
	v_rcp_f32_e32 v2, v2
	s_waitcnt_depctr 0xfff
	v_mul_f32_e32 v2, 0x5f7ffffc, v2
	s_delay_alu instid0(VALU_DEP_1) | instskip(NEXT) | instid1(VALU_DEP_1)
	v_mul_f32_e32 v7, 0x2f800000, v2
	v_trunc_f32_e32 v7, v7
	s_delay_alu instid0(VALU_DEP_1) | instskip(SKIP_1) | instid1(VALU_DEP_2)
	v_fmac_f32_e32 v2, 0xcf800000, v7
	v_cvt_u32_f32_e32 v7, v7
	v_cvt_u32_f32_e32 v2, v2
	s_delay_alu instid0(VALU_DEP_2) | instskip(NEXT) | instid1(VALU_DEP_2)
	v_mul_lo_u32 v8, s2, v7
	v_mul_hi_u32 v9, s2, v2
	v_mul_lo_u32 v10, s20, v2
	s_delay_alu instid0(VALU_DEP_2) | instskip(SKIP_1) | instid1(VALU_DEP_2)
	v_add_nc_u32_e32 v8, v9, v8
	v_mul_lo_u32 v9, s2, v2
	v_add_nc_u32_e32 v8, v8, v10
	s_delay_alu instid0(VALU_DEP_2) | instskip(NEXT) | instid1(VALU_DEP_2)
	v_mul_hi_u32 v10, v2, v9
	v_mul_lo_u32 v11, v2, v8
	v_mul_hi_u32 v12, v2, v8
	v_mul_hi_u32 v13, v7, v9
	v_mul_lo_u32 v9, v7, v9
	v_mul_hi_u32 v14, v7, v8
	v_mul_lo_u32 v8, v7, v8
	v_add_co_u32 v10, vcc_lo, v10, v11
	v_add_co_ci_u32_e32 v11, vcc_lo, 0, v12, vcc_lo
	s_delay_alu instid0(VALU_DEP_2) | instskip(NEXT) | instid1(VALU_DEP_2)
	v_add_co_u32 v9, vcc_lo, v10, v9
	v_add_co_ci_u32_e32 v9, vcc_lo, v11, v13, vcc_lo
	v_add_co_ci_u32_e32 v10, vcc_lo, 0, v14, vcc_lo
	s_delay_alu instid0(VALU_DEP_2) | instskip(NEXT) | instid1(VALU_DEP_2)
	v_add_co_u32 v8, vcc_lo, v9, v8
	v_add_co_ci_u32_e32 v9, vcc_lo, 0, v10, vcc_lo
	s_delay_alu instid0(VALU_DEP_2) | instskip(NEXT) | instid1(VALU_DEP_2)
	v_add_co_u32 v2, vcc_lo, v2, v8
	v_add_co_ci_u32_e32 v7, vcc_lo, v7, v9, vcc_lo
	s_delay_alu instid0(VALU_DEP_2) | instskip(SKIP_1) | instid1(VALU_DEP_3)
	v_mul_hi_u32 v8, s2, v2
	v_mul_lo_u32 v10, s20, v2
	v_mul_lo_u32 v9, s2, v7
	s_delay_alu instid0(VALU_DEP_1) | instskip(SKIP_1) | instid1(VALU_DEP_2)
	v_add_nc_u32_e32 v8, v8, v9
	v_mul_lo_u32 v9, s2, v2
	v_add_nc_u32_e32 v8, v8, v10
	s_delay_alu instid0(VALU_DEP_2) | instskip(NEXT) | instid1(VALU_DEP_2)
	v_mul_hi_u32 v10, v2, v9
	v_mul_lo_u32 v11, v2, v8
	v_mul_hi_u32 v12, v2, v8
	v_mul_hi_u32 v13, v7, v9
	v_mul_lo_u32 v9, v7, v9
	v_mul_hi_u32 v14, v7, v8
	v_mul_lo_u32 v8, v7, v8
	v_add_co_u32 v10, vcc_lo, v10, v11
	v_add_co_ci_u32_e32 v11, vcc_lo, 0, v12, vcc_lo
	s_delay_alu instid0(VALU_DEP_2) | instskip(NEXT) | instid1(VALU_DEP_2)
	v_add_co_u32 v9, vcc_lo, v10, v9
	v_add_co_ci_u32_e32 v9, vcc_lo, v11, v13, vcc_lo
	v_add_co_ci_u32_e32 v10, vcc_lo, 0, v14, vcc_lo
	s_delay_alu instid0(VALU_DEP_2) | instskip(NEXT) | instid1(VALU_DEP_2)
	v_add_co_u32 v8, vcc_lo, v9, v8
	v_add_co_ci_u32_e32 v9, vcc_lo, 0, v10, vcc_lo
	s_delay_alu instid0(VALU_DEP_2) | instskip(NEXT) | instid1(VALU_DEP_2)
	v_add_co_u32 v2, vcc_lo, v2, v8
	v_add_co_ci_u32_e32 v13, vcc_lo, v7, v9, vcc_lo
	s_delay_alu instid0(VALU_DEP_2) | instskip(SKIP_1) | instid1(VALU_DEP_3)
	v_mul_hi_u32 v14, v5, v2
	v_mad_u64_u32 v[9:10], null, v6, v2, 0
	v_mad_u64_u32 v[7:8], null, v5, v13, 0
	;; [unrolled: 1-line block ×3, first 2 shown]
	s_delay_alu instid0(VALU_DEP_2) | instskip(NEXT) | instid1(VALU_DEP_3)
	v_add_co_u32 v2, vcc_lo, v14, v7
	v_add_co_ci_u32_e32 v7, vcc_lo, 0, v8, vcc_lo
	s_delay_alu instid0(VALU_DEP_2) | instskip(NEXT) | instid1(VALU_DEP_2)
	v_add_co_u32 v2, vcc_lo, v2, v9
	v_add_co_ci_u32_e32 v2, vcc_lo, v7, v10, vcc_lo
	v_add_co_ci_u32_e32 v7, vcc_lo, 0, v12, vcc_lo
	s_delay_alu instid0(VALU_DEP_2) | instskip(NEXT) | instid1(VALU_DEP_2)
	v_add_co_u32 v2, vcc_lo, v2, v11
	v_add_co_ci_u32_e32 v9, vcc_lo, 0, v7, vcc_lo
	s_delay_alu instid0(VALU_DEP_2) | instskip(SKIP_1) | instid1(VALU_DEP_3)
	v_mul_lo_u32 v10, s19, v2
	v_mad_u64_u32 v[7:8], null, s18, v2, 0
	v_mul_lo_u32 v11, s18, v9
	s_delay_alu instid0(VALU_DEP_2) | instskip(NEXT) | instid1(VALU_DEP_2)
	v_sub_co_u32 v7, vcc_lo, v5, v7
	v_add3_u32 v8, v8, v11, v10
	s_delay_alu instid0(VALU_DEP_1) | instskip(NEXT) | instid1(VALU_DEP_1)
	v_sub_nc_u32_e32 v10, v6, v8
	v_subrev_co_ci_u32_e64 v10, s2, s19, v10, vcc_lo
	v_add_co_u32 v11, s2, v2, 2
	s_delay_alu instid0(VALU_DEP_1) | instskip(SKIP_3) | instid1(VALU_DEP_3)
	v_add_co_ci_u32_e64 v12, s2, 0, v9, s2
	v_sub_co_u32 v13, s2, v7, s18
	v_sub_co_ci_u32_e32 v8, vcc_lo, v6, v8, vcc_lo
	v_subrev_co_ci_u32_e64 v10, s2, 0, v10, s2
	v_cmp_le_u32_e32 vcc_lo, s18, v13
	s_delay_alu instid0(VALU_DEP_3) | instskip(SKIP_1) | instid1(VALU_DEP_4)
	v_cmp_eq_u32_e64 s2, s19, v8
	v_cndmask_b32_e64 v13, 0, -1, vcc_lo
	v_cmp_le_u32_e32 vcc_lo, s19, v10
	v_cndmask_b32_e64 v14, 0, -1, vcc_lo
	v_cmp_le_u32_e32 vcc_lo, s18, v7
	;; [unrolled: 2-line block ×3, first 2 shown]
	v_cndmask_b32_e64 v15, 0, -1, vcc_lo
	v_cmp_eq_u32_e32 vcc_lo, s19, v10
	s_delay_alu instid0(VALU_DEP_2) | instskip(SKIP_3) | instid1(VALU_DEP_3)
	v_cndmask_b32_e64 v7, v15, v7, s2
	v_cndmask_b32_e32 v10, v14, v13, vcc_lo
	v_add_co_u32 v13, vcc_lo, v2, 1
	v_add_co_ci_u32_e32 v14, vcc_lo, 0, v9, vcc_lo
	v_cmp_ne_u32_e32 vcc_lo, 0, v10
	s_delay_alu instid0(VALU_DEP_2) | instskip(NEXT) | instid1(VALU_DEP_4)
	v_cndmask_b32_e32 v8, v14, v12, vcc_lo
	v_cndmask_b32_e32 v10, v13, v11, vcc_lo
	v_cmp_ne_u32_e32 vcc_lo, 0, v7
	s_delay_alu instid0(VALU_DEP_2)
	v_dual_cndmask_b32 v7, v2, v10 :: v_dual_cndmask_b32 v8, v9, v8
.LBB0_4:                                ;   in Loop: Header=BB0_2 Depth=1
	s_and_not1_saveexec_b32 s2, s3
	s_cbranch_execz .LBB0_6
; %bb.5:                                ;   in Loop: Header=BB0_2 Depth=1
	v_cvt_f32_u32_e32 v2, s18
	s_sub_i32 s3, 0, s18
	s_delay_alu instid0(VALU_DEP_1) | instskip(SKIP_2) | instid1(VALU_DEP_1)
	v_rcp_iflag_f32_e32 v2, v2
	s_waitcnt_depctr 0xfff
	v_mul_f32_e32 v2, 0x4f7ffffe, v2
	v_cvt_u32_f32_e32 v2, v2
	s_delay_alu instid0(VALU_DEP_1) | instskip(NEXT) | instid1(VALU_DEP_1)
	v_mul_lo_u32 v7, s3, v2
	v_mul_hi_u32 v7, v2, v7
	s_delay_alu instid0(VALU_DEP_1) | instskip(NEXT) | instid1(VALU_DEP_1)
	v_add_nc_u32_e32 v2, v2, v7
	v_mul_hi_u32 v2, v5, v2
	s_delay_alu instid0(VALU_DEP_1) | instskip(SKIP_1) | instid1(VALU_DEP_2)
	v_mul_lo_u32 v7, v2, s18
	v_add_nc_u32_e32 v8, 1, v2
	v_sub_nc_u32_e32 v7, v5, v7
	s_delay_alu instid0(VALU_DEP_1) | instskip(SKIP_1) | instid1(VALU_DEP_2)
	v_subrev_nc_u32_e32 v9, s18, v7
	v_cmp_le_u32_e32 vcc_lo, s18, v7
	v_dual_cndmask_b32 v7, v7, v9 :: v_dual_cndmask_b32 v2, v2, v8
	s_delay_alu instid0(VALU_DEP_1) | instskip(NEXT) | instid1(VALU_DEP_2)
	v_cmp_le_u32_e32 vcc_lo, s18, v7
	v_add_nc_u32_e32 v8, 1, v2
	s_delay_alu instid0(VALU_DEP_1)
	v_dual_cndmask_b32 v7, v2, v8 :: v_dual_mov_b32 v8, v1
.LBB0_6:                                ;   in Loop: Header=BB0_2 Depth=1
	s_or_b32 exec_lo, exec_lo, s2
	s_load_b64 s[2:3], s[12:13], 0x0
	s_delay_alu instid0(VALU_DEP_1) | instskip(NEXT) | instid1(VALU_DEP_2)
	v_mul_lo_u32 v2, v8, s18
	v_mul_lo_u32 v11, v7, s19
	v_mad_u64_u32 v[9:10], null, v7, s18, 0
	s_add_u32 s16, s16, 1
	s_addc_u32 s17, s17, 0
	s_add_u32 s12, s12, 8
	s_addc_u32 s13, s13, 0
	;; [unrolled: 2-line block ×3, first 2 shown]
	s_delay_alu instid0(VALU_DEP_1) | instskip(SKIP_1) | instid1(VALU_DEP_2)
	v_add3_u32 v2, v10, v11, v2
	v_sub_co_u32 v9, vcc_lo, v5, v9
	v_sub_co_ci_u32_e32 v2, vcc_lo, v6, v2, vcc_lo
	s_waitcnt lgkmcnt(0)
	s_delay_alu instid0(VALU_DEP_2) | instskip(NEXT) | instid1(VALU_DEP_2)
	v_mul_lo_u32 v10, s3, v9
	v_mul_lo_u32 v2, s2, v2
	v_mad_u64_u32 v[5:6], null, s2, v9, v[3:4]
	v_cmp_ge_u64_e64 s2, s[16:17], s[6:7]
	s_delay_alu instid0(VALU_DEP_1) | instskip(NEXT) | instid1(VALU_DEP_2)
	s_and_b32 vcc_lo, exec_lo, s2
	v_add3_u32 v4, v10, v6, v2
	s_delay_alu instid0(VALU_DEP_3)
	v_mov_b32_e32 v3, v5
	s_cbranch_vccnz .LBB0_8
; %bb.7:                                ;   in Loop: Header=BB0_2 Depth=1
	v_dual_mov_b32 v5, v7 :: v_dual_mov_b32 v6, v8
	s_branch .LBB0_2
.LBB0_8:
	s_lshl_b64 s[2:3], s[6:7], 3
	v_mov_b32_e32 v66, 0
	s_add_u32 s2, s10, s2
	s_addc_u32 s3, s11, s3
	v_mov_b32_e32 v67, 0
	s_load_b64 s[2:3], s[2:3], 0x0
	s_load_b64 s[0:1], s[0:1], 0x20
                                        ; implicit-def: $vgpr10_vgpr11
                                        ; implicit-def: $vgpr26_vgpr27
                                        ; implicit-def: $vgpr18_vgpr19
                                        ; implicit-def: $vgpr22_vgpr23
                                        ; implicit-def: $vgpr34_vgpr35
                                        ; implicit-def: $vgpr30_vgpr31
                                        ; implicit-def: $vgpr38_vgpr39
                                        ; implicit-def: $vgpr42_vgpr43
                                        ; implicit-def: $vgpr14_vgpr15
	s_waitcnt lgkmcnt(0)
	v_mul_lo_u32 v5, s2, v8
	v_mul_lo_u32 v6, s3, v7
	v_mad_u64_u32 v[1:2], null, s2, v7, v[3:4]
	v_mul_hi_u32 v3, 0x7c1f07d, v0
	v_cmp_gt_u64_e32 vcc_lo, s[0:1], v[7:8]
	s_delay_alu instid0(VALU_DEP_3) | instskip(NEXT) | instid1(VALU_DEP_3)
	v_add3_u32 v2, v6, v2, v5
                                        ; implicit-def: $vgpr6_vgpr7
	v_mul_u32_u24_e32 v3, 33, v3
	s_delay_alu instid0(VALU_DEP_2) | instskip(NEXT) | instid1(VALU_DEP_2)
	v_lshlrev_b64 v[64:65], 4, v[1:2]
	v_sub_nc_u32_e32 v68, v0, v3
                                        ; implicit-def: $vgpr2_vgpr3
	s_and_saveexec_b32 s1, vcc_lo
; %bb.9:
	v_mov_b32_e32 v69, 0
	s_delay_alu instid0(VALU_DEP_3) | instskip(NEXT) | instid1(VALU_DEP_1)
	v_add_co_u32 v2, s0, s8, v64
	v_add_co_ci_u32_e64 v3, s0, s9, v65, s0
	s_delay_alu instid0(VALU_DEP_3) | instskip(SKIP_1) | instid1(VALU_DEP_2)
	v_lshlrev_b64 v[0:1], 4, v[68:69]
	v_dual_mov_b32 v66, v68 :: v_dual_mov_b32 v67, v69
	v_add_co_u32 v0, s0, v2, v0
	s_delay_alu instid0(VALU_DEP_1)
	v_add_co_ci_u32_e64 v1, s0, v3, v1, s0
	s_clause 0x3
	global_load_b128 v[12:15], v[0:1], off
	global_load_b128 v[40:43], v[0:1], off offset:528
	global_load_b128 v[36:39], v[0:1], off offset:1056
	;; [unrolled: 1-line block ×3, first 2 shown]
	v_add_co_u32 v2, s0, 0x1000, v0
	s_delay_alu instid0(VALU_DEP_1)
	v_add_co_ci_u32_e64 v3, s0, 0, v1, s0
	s_clause 0x6
	global_load_b128 v[32:35], v[0:1], off offset:2112
	global_load_b128 v[20:23], v[0:1], off offset:2640
	global_load_b128 v[16:19], v[0:1], off offset:3168
	global_load_b128 v[24:27], v[0:1], off offset:3696
	global_load_b128 v[8:11], v[2:3], off offset:128
	global_load_b128 v[4:7], v[2:3], off offset:656
	global_load_b128 v[0:3], v[2:3], off offset:1184
; %bb.10:
	s_or_b32 exec_lo, exec_lo, s1
	s_waitcnt vmcnt(9)
	v_add_f64 v[45:46], v[40:41], v[12:13]
	s_waitcnt vmcnt(0)
	v_add_f64 v[47:48], v[42:43], -v[2:3]
	s_mov_b32 s26, 0xf8bb580b
	s_mov_b32 s34, 0x8eee2c13
	;; [unrolled: 1-line block ×9, first 2 shown]
	v_add_f64 v[49:50], v[38:39], -v[6:7]
	v_add_f64 v[51:52], v[0:1], v[40:41]
	s_mov_b32 s17, 0xbfefac9e
	s_mov_b32 s10, 0x8764f0ba
	;; [unrolled: 1-line block ×16, first 2 shown]
	v_add_f64 v[61:62], v[4:5], v[36:37]
	v_add_f64 v[69:70], v[30:31], -v[10:11]
	s_mov_b32 s3, 0xbfc2375f
	s_mov_b32 s25, 0x3fed1bb4
	;; [unrolled: 1-line block ×3, first 2 shown]
	v_add_f64 v[89:90], v[34:35], -v[26:27]
	v_cmp_gt_u32_e64 s0, 22, v68
	v_add_f64 v[45:46], v[36:37], v[45:46]
	v_mul_f64 v[53:54], v[47:48], s[26:27]
	v_mul_f64 v[55:56], v[47:48], s[34:35]
	;; [unrolled: 1-line block ×18, first 2 shown]
	v_add_f64 v[45:46], v[28:29], v[45:46]
	v_fma_f64 v[79:80], v[51:52], s[10:11], v[53:54]
	v_fma_f64 v[53:54], v[51:52], s[10:11], -v[53:54]
	v_fma_f64 v[81:82], v[51:52], s[6:7], -v[55:56]
	v_fma_f64 v[83:84], v[51:52], s[12:13], v[57:58]
	v_fma_f64 v[85:86], v[51:52], s[14:15], v[59:60]
	v_fma_f64 v[57:58], v[51:52], s[12:13], -v[57:58]
	v_fma_f64 v[59:60], v[51:52], s[14:15], -v[59:60]
	v_fma_f64 v[87:88], v[51:52], s[2:3], -v[47:48]
	v_fma_f64 v[55:56], v[51:52], s[6:7], v[55:56]
	v_fma_f64 v[47:48], v[51:52], s[2:3], v[47:48]
	v_add_f64 v[51:52], v[8:9], v[28:29]
	v_fma_f64 v[99:100], v[61:62], s[6:7], v[71:72]
	v_fma_f64 v[71:72], v[61:62], s[6:7], -v[71:72]
	v_fma_f64 v[101:102], v[61:62], s[12:13], v[73:74]
	v_fma_f64 v[73:74], v[61:62], s[12:13], -v[73:74]
	;; [unrolled: 2-line block ×5, first 2 shown]
	v_mul_f64 v[115:116], v[89:90], s[20:21]
	v_mul_f64 v[89:90], v[89:90], s[24:25]
	v_add_f64 v[45:46], v[32:33], v[45:46]
	v_add_f64 v[61:62], v[12:13], v[79:80]
	;; [unrolled: 1-line block ×12, first 2 shown]
	v_add_f64 v[87:88], v[22:23], -v[18:19]
	v_fma_f64 v[117:118], v[51:52], s[2:3], v[91:92]
	v_fma_f64 v[91:92], v[51:52], s[2:3], -v[91:92]
	v_fma_f64 v[119:120], v[51:52], s[14:15], v[93:94]
	v_fma_f64 v[93:94], v[51:52], s[14:15], -v[93:94]
	;; [unrolled: 2-line block ×5, first 2 shown]
	v_add_f64 v[45:46], v[20:21], v[45:46]
	v_add_f64 v[61:62], v[99:100], v[61:62]
	;; [unrolled: 1-line block ×12, first 2 shown]
	v_mul_f64 v[77:78], v[87:88], s[20:21]
	v_mul_f64 v[79:80], v[87:88], s[22:23]
	;; [unrolled: 1-line block ×5, first 2 shown]
	v_fma_f64 v[87:88], v[47:48], s[12:13], v[109:110]
	v_fma_f64 v[99:100], v[47:48], s[12:13], -v[109:110]
	v_fma_f64 v[105:106], v[47:48], s[10:11], v[113:114]
	v_fma_f64 v[107:108], v[47:48], s[10:11], -v[113:114]
	v_fma_f64 v[109:110], v[47:48], s[14:15], v[115:116]
	v_fma_f64 v[113:114], v[47:48], s[6:7], v[89:90]
	;; [unrolled: 1-line block ×3, first 2 shown]
	v_fma_f64 v[103:104], v[47:48], s[2:3], -v[111:112]
	v_fma_f64 v[111:112], v[47:48], s[14:15], -v[115:116]
	;; [unrolled: 1-line block ×3, first 2 shown]
	v_add_f64 v[45:46], v[16:17], v[45:46]
	v_add_f64 v[61:62], v[117:118], v[61:62]
	;; [unrolled: 1-line block ×11, first 2 shown]
	v_fma_f64 v[59:60], v[75:76], s[14:15], v[77:78]
	v_fma_f64 v[77:78], v[75:76], s[14:15], -v[77:78]
	v_fma_f64 v[89:90], v[75:76], s[10:11], v[79:80]
	v_fma_f64 v[93:94], v[75:76], s[6:7], v[83:84]
	;; [unrolled: 1-line block ×3, first 2 shown]
	v_fma_f64 v[79:80], v[75:76], s[10:11], -v[79:80]
	v_fma_f64 v[91:92], v[75:76], s[12:13], v[81:82]
	v_fma_f64 v[81:82], v[75:76], s[12:13], -v[81:82]
	v_fma_f64 v[83:84], v[75:76], s[6:7], -v[83:84]
	;; [unrolled: 1-line block ×3, first 2 shown]
	v_add_f64 v[45:46], v[24:25], v[45:46]
	v_add_f64 v[61:62], v[87:88], v[61:62]
	;; [unrolled: 1-line block ×20, first 2 shown]
	v_mul_hi_u32 v45, 0xaaaaaaab, v44
	v_add_f64 v[46:47], v[77:78], v[53:54]
	v_add_f64 v[52:53], v[93:94], v[71:72]
	;; [unrolled: 1-line block ×3, first 2 shown]
	s_delay_alu instid0(VALU_DEP_4) | instskip(NEXT) | instid1(VALU_DEP_1)
	v_lshrrev_b32_e32 v45, 1, v45
	v_lshl_add_u32 v12, v45, 1, v45
	s_delay_alu instid0(VALU_DEP_1) | instskip(NEXT) | instid1(VALU_DEP_1)
	v_sub_nc_u32_e32 v12, v44, v12
	v_mul_u32_u24_e32 v77, 0x16b, v12
	s_delay_alu instid0(VALU_DEP_1) | instskip(NEXT) | instid1(VALU_DEP_1)
	v_lshl_add_u32 v13, v77, 3, 0
	v_mad_u32_u24 v12, 0x58, v68, v13
	v_lshl_add_u32 v75, v68, 3, v13
	v_add_f64 v[71:72], v[0:1], v[85:86]
	s_delay_alu instid0(VALU_DEP_3)
	v_mad_i32_i24 v76, 0xffffffb0, v68, v12
	ds_store_2addr_b64 v12, v[52:53], v[61:62] offset0:4 offset1:5
	ds_store_2addr_b64 v12, v[48:49], v[57:58] offset0:6 offset1:7
	;; [unrolled: 1-line block ×3, first 2 shown]
	ds_store_b64 v12, v[46:47] offset:80
	ds_store_2addr_b64 v12, v[71:72], v[59:60] offset1:1
	ds_store_2addr_b64 v12, v[54:55], v[73:74] offset0:2 offset1:3
	v_add_nc_u32_e32 v78, 0x800, v76
	s_waitcnt lgkmcnt(0)
	s_barrier
	buffer_gl0_inv
	ds_load_b64 v[73:74], v75
	ds_load_2addr_b64 v[56:59], v76 offset0:121 offset1:154
	ds_load_2addr_b64 v[52:55], v76 offset0:187 offset1:242
	;; [unrolled: 1-line block ×4, first 2 shown]
                                        ; implicit-def: $vgpr71_vgpr72
	s_and_saveexec_b32 s1, s0
	s_cbranch_execz .LBB0_12
; %bb.11:
	ds_load_2addr_b64 v[44:47], v76 offset0:99 offset1:220
	ds_load_b64 v[71:72], v76 offset:2728
	s_waitcnt lgkmcnt(1)
	v_dual_mov_b32 v70, v45 :: v_dual_mov_b32 v69, v44
.LBB0_12:
	s_or_b32 exec_lo, exec_lo, s1
	v_add_f64 v[44:45], v[42:43], v[14:15]
	v_add_f64 v[0:1], v[40:41], -v[0:1]
	v_add_f64 v[4:5], v[36:37], -v[4:5]
	v_add_f64 v[36:37], v[2:3], v[42:43]
	v_add_f64 v[8:9], v[28:29], -v[8:9]
	v_add_f64 v[28:29], v[6:7], v[38:39]
	v_add_f64 v[24:25], v[32:33], -v[24:25]
	s_waitcnt lgkmcnt(0)
	s_barrier
	buffer_gl0_inv
	v_add_f64 v[44:45], v[38:39], v[44:45]
	v_mul_f64 v[42:43], v[0:1], s[26:27]
	v_mul_f64 v[79:80], v[0:1], s[18:19]
	;; [unrolled: 1-line block ×12, first 2 shown]
	v_add_f64 v[40:41], v[30:31], v[44:45]
	v_mul_f64 v[44:45], v[0:1], s[34:35]
	v_mul_f64 v[0:1], v[0:1], s[16:17]
	v_fma_f64 v[89:90], v[36:37], s[10:11], -v[42:43]
	v_fma_f64 v[42:43], v[36:37], s[10:11], v[42:43]
	v_fma_f64 v[93:94], v[36:37], s[12:13], -v[79:80]
	v_fma_f64 v[95:96], v[36:37], s[14:15], -v[81:82]
	v_fma_f64 v[79:80], v[36:37], s[12:13], v[79:80]
	v_fma_f64 v[81:82], v[36:37], s[14:15], v[81:82]
	v_add_f64 v[30:31], v[10:11], v[30:31]
	v_fma_f64 v[103:104], v[28:29], s[6:7], -v[38:39]
	v_fma_f64 v[38:39], v[28:29], s[6:7], v[38:39]
	v_fma_f64 v[105:106], v[28:29], s[12:13], -v[83:84]
	v_fma_f64 v[83:84], v[28:29], s[12:13], v[83:84]
	;; [unrolled: 2-line block ×5, first 2 shown]
	v_add_f64 v[40:41], v[34:35], v[40:41]
	v_fma_f64 v[91:92], v[36:37], s[6:7], v[44:45]
	v_fma_f64 v[97:98], v[36:37], s[2:3], v[0:1]
	v_fma_f64 v[44:45], v[36:37], s[6:7], -v[44:45]
	v_fma_f64 v[0:1], v[36:37], s[2:3], -v[0:1]
	v_mul_f64 v[36:37], v[8:9], s[30:31]
	v_mul_f64 v[8:9], v[8:9], s[18:19]
	v_add_f64 v[28:29], v[14:15], v[89:90]
	v_add_f64 v[42:43], v[14:15], v[42:43]
	;; [unrolled: 1-line block ×4, first 2 shown]
	v_fma_f64 v[115:116], v[30:31], s[2:3], -v[32:33]
	v_fma_f64 v[32:33], v[30:31], s[2:3], v[32:33]
	v_fma_f64 v[119:120], v[30:31], s[6:7], -v[99:100]
	v_fma_f64 v[99:100], v[30:31], s[6:7], v[99:100]
	;; [unrolled: 2-line block ×3, first 2 shown]
	v_add_f64 v[40:41], v[22:23], v[40:41]
	v_add_f64 v[89:90], v[14:15], v[91:92]
	;; [unrolled: 1-line block ×8, first 2 shown]
	v_add_f64 v[15:16], v[20:21], -v[16:17]
	v_mul_f64 v[20:21], v[24:25], s[18:19]
	v_mul_f64 v[34:35], v[24:25], s[28:29]
	;; [unrolled: 1-line block ×4, first 2 shown]
	v_fma_f64 v[117:118], v[30:31], s[14:15], -v[36:37]
	v_fma_f64 v[36:37], v[30:31], s[14:15], v[36:37]
	v_fma_f64 v[123:124], v[30:31], s[12:13], -v[8:9]
	v_fma_f64 v[8:9], v[30:31], s[12:13], v[8:9]
	v_add_f64 v[28:29], v[103:104], v[28:29]
	v_add_f64 v[30:31], v[38:39], v[42:43]
	;; [unrolled: 1-line block ×12, first 2 shown]
	v_mul_f64 v[22:23], v[15:16], s[20:21]
	v_mul_f64 v[85:86], v[15:16], s[18:19]
	;; [unrolled: 1-line block ×3, first 2 shown]
	v_fma_f64 v[89:90], v[13:14], s[12:13], -v[20:21]
	v_fma_f64 v[19:20], v[13:14], s[12:13], v[20:21]
	v_fma_f64 v[91:92], v[13:14], s[2:3], -v[34:35]
	v_fma_f64 v[34:35], v[13:14], s[2:3], v[34:35]
	;; [unrolled: 2-line block ×5, first 2 shown]
	v_add_f64 v[24:25], v[115:116], v[28:29]
	v_add_f64 v[28:29], v[32:33], v[30:31]
	;; [unrolled: 1-line block ×4, first 2 shown]
	v_mul_f64 v[40:41], v[15:16], s[22:23]
	v_mul_f64 v[15:16], v[15:16], s[16:17]
	v_add_f64 v[30:31], v[36:37], v[38:39]
	v_add_f64 v[32:33], v[121:122], v[42:43]
	;; [unrolled: 1-line block ×7, first 2 shown]
	v_fma_f64 v[79:80], v[17:18], s[12:13], -v[85:86]
	v_fma_f64 v[81:82], v[17:18], s[12:13], v[85:86]
	v_fma_f64 v[83:84], v[17:18], s[6:7], -v[87:88]
	v_fma_f64 v[85:86], v[17:18], s[6:7], v[87:88]
	v_add_f64 v[19:20], v[19:20], v[28:29]
	v_add_f64 v[13:14], v[13:14], v[4:5]
	;; [unrolled: 1-line block ×3, first 2 shown]
	v_fma_f64 v[26:27], v[17:18], s[14:15], -v[22:23]
	v_fma_f64 v[21:22], v[17:18], s[14:15], v[22:23]
	v_fma_f64 v[44:45], v[17:18], s[10:11], -v[40:41]
	v_fma_f64 v[40:41], v[17:18], s[10:11], v[40:41]
	;; [unrolled: 2-line block ×3, first 2 shown]
	v_add_f64 v[17:18], v[89:90], v[24:25]
	v_add_f64 v[23:24], v[34:35], v[30:31]
	;; [unrolled: 1-line block ×20, first 2 shown]
	ds_store_2addr_b64 v12, v[19:20], v[23:24] offset0:4 offset1:5
	ds_store_2addr_b64 v12, v[13:14], v[21:22] offset0:6 offset1:7
	;; [unrolled: 1-line block ×3, first 2 shown]
	ds_store_b64 v12, v[6:7] offset:80
	ds_store_2addr_b64 v12, v[2:3], v[17:18] offset1:1
	ds_store_2addr_b64 v12, v[15:16], v[0:1] offset0:2 offset1:3
	s_waitcnt lgkmcnt(0)
	s_barrier
	buffer_gl0_inv
	ds_load_b64 v[20:21], v75
	ds_load_2addr_b64 v[16:19], v76 offset0:121 offset1:154
	ds_load_2addr_b64 v[12:15], v76 offset0:187 offset1:242
	;; [unrolled: 1-line block ×4, first 2 shown]
                                        ; implicit-def: $vgpr22_vgpr23
	s_and_saveexec_b32 s1, s0
	s_cbranch_execz .LBB0_14
; %bb.13:
	ds_load_2addr_b64 v[4:7], v76 offset0:99 offset1:220
	ds_load_b64 v[22:23], v76 offset:2728
.LBB0_14:
	s_or_b32 exec_lo, exec_lo, s1
	v_add_nc_u16 v24, v68, 33
	v_add_nc_u16 v25, v68, 0x42
	v_and_b32_e32 v26, 0xff, v68
	s_mov_b32 s2, 0xe8584caa
	s_mov_b32 s3, 0xbfebb67a
	v_and_b32_e32 v27, 0xff, v24
	v_and_b32_e32 v28, 0xff, v25
	v_mul_lo_u16 v26, 0x75, v26
	s_mov_b32 s7, 0x3febb67a
	s_mov_b32 s6, s2
	v_mul_lo_u16 v27, 0x75, v27
	v_mul_lo_u16 v28, 0x75, v28
	v_lshrrev_b16 v26, 8, v26
	s_delay_alu instid0(VALU_DEP_3) | instskip(NEXT) | instid1(VALU_DEP_3)
	v_lshrrev_b16 v27, 8, v27
	v_lshrrev_b16 v28, 8, v28
	s_delay_alu instid0(VALU_DEP_3) | instskip(NEXT) | instid1(VALU_DEP_3)
	v_sub_nc_u16 v29, v68, v26
	v_sub_nc_u16 v30, v24, v27
	s_delay_alu instid0(VALU_DEP_3) | instskip(NEXT) | instid1(VALU_DEP_3)
	v_sub_nc_u16 v31, v25, v28
	v_lshrrev_b16 v29, 1, v29
	s_delay_alu instid0(VALU_DEP_3) | instskip(NEXT) | instid1(VALU_DEP_3)
	v_lshrrev_b16 v30, 1, v30
	v_lshrrev_b16 v31, 1, v31
	s_delay_alu instid0(VALU_DEP_3) | instskip(NEXT) | instid1(VALU_DEP_3)
	v_and_b32_e32 v29, 0x7f, v29
	v_and_b32_e32 v30, 0x7f, v30
	s_delay_alu instid0(VALU_DEP_3) | instskip(NEXT) | instid1(VALU_DEP_3)
	v_and_b32_e32 v31, 0x7f, v31
	v_add_nc_u16 v26, v29, v26
	s_delay_alu instid0(VALU_DEP_3) | instskip(NEXT) | instid1(VALU_DEP_3)
	v_add_nc_u16 v27, v30, v27
	v_add_nc_u16 v28, v31, v28
	s_delay_alu instid0(VALU_DEP_3) | instskip(NEXT) | instid1(VALU_DEP_3)
	v_lshrrev_b16 v104, 3, v26
	v_lshrrev_b16 v105, 3, v27
	s_delay_alu instid0(VALU_DEP_3) | instskip(NEXT) | instid1(VALU_DEP_3)
	v_lshrrev_b16 v106, 3, v28
	v_mul_lo_u16 v26, v104, 11
	s_delay_alu instid0(VALU_DEP_3) | instskip(NEXT) | instid1(VALU_DEP_3)
	v_mul_lo_u16 v27, v105, 11
	v_mul_lo_u16 v28, v106, 11
	s_delay_alu instid0(VALU_DEP_3) | instskip(NEXT) | instid1(VALU_DEP_3)
	v_sub_nc_u16 v26, v68, v26
	v_sub_nc_u16 v24, v24, v27
	s_delay_alu instid0(VALU_DEP_3) | instskip(NEXT) | instid1(VALU_DEP_3)
	v_sub_nc_u16 v25, v25, v28
	v_and_b32_e32 v107, 0xff, v26
	s_delay_alu instid0(VALU_DEP_3) | instskip(NEXT) | instid1(VALU_DEP_3)
	v_and_b32_e32 v108, 0xff, v24
	v_and_b32_e32 v109, 0xff, v25
	s_delay_alu instid0(VALU_DEP_3) | instskip(NEXT) | instid1(VALU_DEP_3)
	v_lshlrev_b32_e32 v24, 5, v107
	v_lshlrev_b32_e32 v25, 5, v108
	s_delay_alu instid0(VALU_DEP_3)
	v_lshlrev_b32_e32 v26, 5, v109
	s_clause 0x5
	global_load_b128 v[36:39], v24, s[4:5]
	global_load_b128 v[40:43], v24, s[4:5] offset:16
	global_load_b128 v[78:81], v25, s[4:5]
	global_load_b128 v[82:85], v25, s[4:5] offset:16
	global_load_b128 v[86:89], v26, s[4:5]
	global_load_b128 v[90:93], v26, s[4:5] offset:16
	v_add_nc_u16 v24, v68, 0x63
	s_delay_alu instid0(VALU_DEP_1) | instskip(NEXT) | instid1(VALU_DEP_1)
	v_and_b32_e32 v25, 0xff, v24
	v_mul_lo_u16 v25, 0x75, v25
	s_delay_alu instid0(VALU_DEP_1) | instskip(NEXT) | instid1(VALU_DEP_1)
	v_lshrrev_b16 v25, 8, v25
	v_sub_nc_u16 v26, v24, v25
	s_delay_alu instid0(VALU_DEP_1) | instskip(NEXT) | instid1(VALU_DEP_1)
	v_lshrrev_b16 v26, 1, v26
	v_and_b32_e32 v26, 0x7f, v26
	s_delay_alu instid0(VALU_DEP_1) | instskip(NEXT) | instid1(VALU_DEP_1)
	v_add_nc_u16 v25, v26, v25
	v_lshrrev_b16 v110, 3, v25
	s_delay_alu instid0(VALU_DEP_1) | instskip(NEXT) | instid1(VALU_DEP_1)
	v_mul_lo_u16 v25, v110, 11
	v_sub_nc_u16 v24, v24, v25
	s_delay_alu instid0(VALU_DEP_1) | instskip(NEXT) | instid1(VALU_DEP_1)
	v_and_b32_e32 v111, 0xff, v24
	v_lshlrev_b32_e32 v24, 5, v111
	s_clause 0x1
	global_load_b128 v[94:97], v24, s[4:5]
	global_load_b128 v[98:101], v24, s[4:5] offset:16
	s_waitcnt vmcnt(0) lgkmcnt(0)
	s_barrier
	buffer_gl0_inv
	v_mul_f64 v[24:25], v[16:17], v[38:39]
	v_mul_f64 v[26:27], v[14:15], v[42:43]
	;; [unrolled: 1-line block ×12, first 2 shown]
	v_fma_f64 v[32:33], v[56:57], v[36:37], v[24:25]
	v_fma_f64 v[34:35], v[54:55], v[40:41], v[26:27]
	;; [unrolled: 1-line block ×6, first 2 shown]
	v_fma_f64 v[16:17], v[16:17], v[36:37], -v[38:39]
	v_fma_f64 v[14:15], v[14:15], v[40:41], -v[42:43]
	;; [unrolled: 1-line block ×6, first 2 shown]
	v_mul_f64 v[42:43], v[6:7], v[96:97]
	v_mul_f64 v[44:45], v[46:47], v[96:97]
	;; [unrolled: 1-line block ×4, first 2 shown]
	v_add_f64 v[54:55], v[73:74], v[32:33]
	v_add_f64 v[38:39], v[32:33], v[34:35]
	;; [unrolled: 1-line block ×6, first 2 shown]
	v_add_f64 v[56:57], v[16:17], -v[14:15]
	v_add_f64 v[62:63], v[18:19], -v[8:9]
	v_fma_f64 v[6:7], v[6:7], v[94:95], -v[44:45]
	v_and_b32_e32 v44, 0xffff, v106
	v_lshlrev_b32_e32 v45, 3, v107
	v_fma_f64 v[38:39], v[38:39], -0.5, v[73:74]
	v_add_f64 v[73:74], v[36:37], -v[40:41]
	v_fma_f64 v[48:49], v[12:13], -0.5, v[48:49]
	v_fma_f64 v[12:13], v[71:72], v[98:99], v[52:53]
	v_fma_f64 v[50:51], v[10:11], -0.5, v[50:51]
	v_fma_f64 v[10:11], v[46:47], v[94:95], v[42:43]
	v_add_f64 v[52:53], v[54:55], v[34:35]
	v_add_f64 v[54:55], v[58:59], v[30:31]
	;; [unrolled: 1-line block ×3, first 2 shown]
	v_lshlrev_b32_e32 v42, 3, v77
	v_mad_u32_u24 v47, 0x108, v44, 0
	v_and_b32_e32 v43, 0xffff, v110
	v_lshlrev_b32_e32 v44, 3, v111
	v_fma_f64 v[60:61], v[56:57], s[2:3], v[38:39]
	v_fma_f64 v[56:57], v[56:57], s[6:7], v[38:39]
	v_fma_f64 v[38:39], v[22:23], v[98:99], -v[78:79]
	v_fma_f64 v[71:72], v[62:63], s[2:3], v[48:49]
	v_fma_f64 v[48:49], v[62:63], s[6:7], v[48:49]
	;; [unrolled: 1-line block ×4, first 2 shown]
	v_and_b32_e32 v22, 0xffff, v104
	v_and_b32_e32 v23, 0xffff, v105
	v_lshlrev_b32_e32 v73, 3, v109
	s_delay_alu instid0(VALU_DEP_3) | instskip(NEXT) | instid1(VALU_DEP_3)
	v_mad_u32_u24 v22, 0x108, v22, 0
	v_mad_u32_u24 v23, 0x108, v23, 0
	s_delay_alu instid0(VALU_DEP_3) | instskip(NEXT) | instid1(VALU_DEP_3)
	v_add3_u32 v47, v47, v73, v42
	v_add3_u32 v45, v22, v45, v42
	v_lshlrev_b32_e32 v22, 3, v108
	s_delay_alu instid0(VALU_DEP_1)
	v_add3_u32 v46, v23, v22, v42
	ds_store_2addr_b64 v45, v[52:53], v[60:61] offset1:11
	ds_store_b64 v45, v[56:57] offset:176
	ds_store_2addr_b64 v46, v[54:55], v[71:72] offset1:11
	ds_store_b64 v46, v[48:49] offset:176
	;; [unrolled: 2-line block ×3, first 2 shown]
	s_and_saveexec_b32 s1, s0
	s_cbranch_execz .LBB0_16
; %bb.15:
	v_add_f64 v[22:23], v[10:11], v[12:13]
	v_add_f64 v[48:49], v[6:7], -v[38:39]
	v_add_f64 v[50:51], v[69:70], v[10:11]
	s_delay_alu instid0(VALU_DEP_3) | instskip(NEXT) | instid1(VALU_DEP_2)
	v_fma_f64 v[22:23], v[22:23], -0.5, v[69:70]
	v_add_f64 v[50:51], v[50:51], v[12:13]
	s_delay_alu instid0(VALU_DEP_2) | instskip(SKIP_2) | instid1(VALU_DEP_1)
	v_fma_f64 v[52:53], v[48:49], s[2:3], v[22:23]
	v_fma_f64 v[22:23], v[48:49], s[6:7], v[22:23]
	v_mad_u32_u24 v48, 0x108, v43, 0
	v_add3_u32 v48, v48, v44, v42
	ds_store_2addr_b64 v48, v[50:51], v[52:53] offset1:11
	ds_store_b64 v48, v[22:23] offset:176
.LBB0_16:
	s_or_b32 exec_lo, exec_lo, s1
	v_add_f64 v[22:23], v[16:17], v[14:15]
	v_add_f64 v[48:49], v[18:19], v[8:9]
	;; [unrolled: 1-line block ×4, first 2 shown]
	v_add_f64 v[32:33], v[32:33], -v[34:35]
	v_add_f64 v[18:19], v[0:1], v[18:19]
	v_add_f64 v[34:35], v[2:3], v[36:37]
	v_add_f64 v[24:25], v[24:25], -v[28:29]
	s_waitcnt lgkmcnt(0)
	s_barrier
	buffer_gl0_inv
	ds_load_b64 v[36:37], v75
	v_fma_f64 v[20:21], v[22:23], -0.5, v[20:21]
	v_add_f64 v[22:23], v[26:27], -v[30:31]
	v_fma_f64 v[0:1], v[48:49], -0.5, v[0:1]
	v_fma_f64 v[2:3], v[50:51], -0.5, v[2:3]
	v_add_f64 v[14:15], v[16:17], v[14:15]
	v_add_f64 v[8:9], v[18:19], v[8:9]
	v_lshlrev_b32_e32 v16, 3, v68
	v_add_f64 v[48:49], v[34:35], v[40:41]
	s_delay_alu instid0(VALU_DEP_2) | instskip(NEXT) | instid1(VALU_DEP_1)
	v_add3_u32 v40, 0, v16, v42
	v_add_nc_u32_e32 v16, 0x400, v40
	v_add_nc_u32_e32 v17, 0x800, v40
	v_fma_f64 v[50:51], v[32:33], s[6:7], v[20:21]
	v_fma_f64 v[52:53], v[32:33], s[2:3], v[20:21]
	;; [unrolled: 1-line block ×6, first 2 shown]
	ds_load_2addr_b64 v[20:23], v76 offset0:33 offset1:66
	ds_load_2addr_b64 v[28:31], v40 offset0:99 offset1:132
	;; [unrolled: 1-line block ×5, first 2 shown]
	s_waitcnt lgkmcnt(0)
	s_barrier
	buffer_gl0_inv
	ds_store_2addr_b64 v45, v[14:15], v[50:51] offset1:11
	ds_store_b64 v45, v[52:53] offset:176
	ds_store_2addr_b64 v46, v[8:9], v[54:55] offset1:11
	ds_store_b64 v46, v[0:1] offset:176
	;; [unrolled: 2-line block ×3, first 2 shown]
	s_and_saveexec_b32 s1, s0
	s_cbranch_execz .LBB0_18
; %bb.17:
	v_add_f64 v[0:1], v[6:7], v[38:39]
	v_add_f64 v[2:3], v[10:11], -v[12:13]
	s_mov_b32 s3, 0x3febb67a
	s_mov_b32 s2, 0xe8584caa
	s_delay_alu instid0(VALU_DEP_2) | instskip(SKIP_1) | instid1(VALU_DEP_2)
	v_fma_f64 v[0:1], v[0:1], -0.5, v[4:5]
	v_add_f64 v[4:5], v[4:5], v[6:7]
	v_fma_f64 v[6:7], v[2:3], s[2:3], v[0:1]
	s_mov_b32 s3, 0xbfebb67a
	s_delay_alu instid0(VALU_DEP_2) | instskip(SKIP_2) | instid1(VALU_DEP_1)
	v_add_f64 v[4:5], v[4:5], v[38:39]
	v_fma_f64 v[0:1], v[2:3], s[2:3], v[0:1]
	v_mad_u32_u24 v2, 0x108, v43, 0
	v_add3_u32 v2, v2, v44, v42
	ds_store_2addr_b64 v2, v[4:5], v[6:7] offset1:11
	ds_store_b64 v2, v[0:1] offset:176
.LBB0_18:
	s_or_b32 exec_lo, exec_lo, s1
	s_waitcnt lgkmcnt(0)
	s_barrier
	buffer_gl0_inv
	s_and_saveexec_b32 s0, vcc_lo
	s_cbranch_execz .LBB0_20
; %bb.19:
	v_mul_u32_u24_e32 v0, 10, v68
	v_add_nc_u32_e32 v63, 0x400, v40
	s_mov_b32 s14, 0xbb3a28a1
	s_mov_b32 s15, 0xbfe82f19
	;; [unrolled: 1-line block ×3, first 2 shown]
	v_lshlrev_b32_e32 v8, 4, v0
	s_mov_b32 s17, 0xbfd207e7
	s_mov_b32 s20, 0x43842ef
	s_mov_b32 s19, 0x3fed1bb4
	s_mov_b32 s18, 0x8eee2c13
	s_clause 0x9
	global_load_b128 v[41:44], v8, s[4:5] offset:352
	global_load_b128 v[45:48], v8, s[4:5] offset:400
	;; [unrolled: 1-line block ×10, first 2 shown]
	ds_load_2addr_b64 v[76:79], v76 offset0:33 offset1:66
	s_mov_b32 s12, 0xf8bb580b
	s_mov_b32 s21, 0xbfefac9e
	;; [unrolled: 1-line block ×19, first 2 shown]
	s_waitcnt vmcnt(9)
	v_mul_f64 v[38:39], v[20:21], v[43:44]
	v_mul_f64 v[20:21], v[20:21], v[41:42]
	s_waitcnt vmcnt(8)
	v_mul_f64 v[61:62], v[30:31], v[45:46]
	v_mul_f64 v[98:99], v[30:31], v[47:48]
	s_waitcnt vmcnt(6)
	v_mul_f64 v[92:93], v[28:29], v[12:13]
	s_waitcnt vmcnt(5)
	v_mul_f64 v[94:95], v[26:27], v[0:1]
	s_waitcnt vmcnt(3)
	v_mul_f64 v[100:101], v[32:33], v[53:54]
	v_mul_f64 v[104:105], v[32:33], v[55:56]
	s_waitcnt vmcnt(1)
	v_mul_f64 v[106:107], v[22:23], v[70:71]
	v_mul_f64 v[108:109], v[22:23], v[68:69]
	;; [unrolled: 1-line block ×9, first 2 shown]
	v_add_nc_u32_e32 v30, 0x800, v40
	s_waitcnt vmcnt(0)
	v_mul_f64 v[114:115], v[16:17], v[8:9]
	v_mul_f64 v[116:117], v[16:17], v[10:11]
	s_waitcnt lgkmcnt(0)
	v_fma_f64 v[32:33], v[76:77], v[41:42], -v[38:39]
	v_mul_f64 v[38:39], v[28:29], v[14:15]
	v_fma_f64 v[76:77], v[76:77], v[43:44], v[20:21]
	ds_load_2addr_b64 v[41:44], v40 offset0:99 offset1:132
	ds_load_2addr_b64 v[80:83], v63 offset0:103 offset1:136
	ds_load_b64 v[20:21], v75
	ds_load_2addr_b64 v[84:87], v30 offset0:41 offset1:74
	ds_load_2addr_b64 v[88:91], v40 offset0:165 offset1:198
	s_waitcnt lgkmcnt(4)
	v_fma_f64 v[26:27], v[43:44], v[47:48], v[61:62]
	v_fma_f64 v[28:29], v[43:44], v[45:46], -v[98:99]
	v_fma_f64 v[43:44], v[78:79], v[68:69], -v[106:107]
	v_fma_f64 v[30:31], v[41:42], v[14:15], v[92:93]
	s_waitcnt lgkmcnt(3)
	v_fma_f64 v[14:15], v[82:83], v[2:3], v[94:95]
	s_waitcnt lgkmcnt(1)
	v_fma_f64 v[2:3], v[86:87], v[6:7], v[96:97]
	v_fma_f64 v[47:48], v[86:87], v[4:5], -v[112:113]
	v_fma_f64 v[16:17], v[80:81], v[51:52], v[72:73]
	v_fma_f64 v[6:7], v[80:81], v[49:50], -v[24:25]
	s_waitcnt lgkmcnt(0)
	v_fma_f64 v[22:23], v[88:89], v[55:56], v[100:101]
	v_fma_f64 v[18:19], v[90:91], v[59:60], v[102:103]
	v_fma_f64 v[24:25], v[88:89], v[53:54], -v[104:105]
	v_fma_f64 v[34:35], v[90:91], v[57:58], -v[34:35]
	v_fma_f64 v[0:1], v[82:83], v[0:1], -v[110:111]
	v_fma_f64 v[4:5], v[84:85], v[10:11], v[114:115]
	v_fma_f64 v[8:9], v[84:85], v[8:9], -v[116:117]
	v_add_f64 v[45:46], v[20:21], v[32:33]
	v_fma_f64 v[12:13], v[41:42], v[12:13], -v[38:39]
	v_fma_f64 v[38:39], v[78:79], v[70:71], v[108:109]
	v_add_f64 v[40:41], v[36:37], v[76:77]
	v_add_f64 v[10:11], v[30:31], -v[14:15]
	v_add_f64 v[49:50], v[76:77], -v[2:3]
	;; [unrolled: 1-line block ×5, first 2 shown]
	v_add_f64 v[84:85], v[30:31], v[14:15]
	v_add_f64 v[55:56], v[22:23], -v[18:19]
	v_add_f64 v[32:33], v[32:33], v[47:48]
	v_add_f64 v[57:58], v[24:25], -v[34:35]
	v_add_f64 v[76:77], v[76:77], v[2:3]
	v_add_f64 v[78:79], v[26:27], v[16:17]
	v_add_f64 v[70:71], v[43:44], -v[8:9]
	v_add_f64 v[45:46], v[43:44], v[45:46]
	v_add_f64 v[59:60], v[12:13], -v[0:1]
	v_add_f64 v[68:69], v[38:39], -v[4:5]
	v_add_f64 v[40:41], v[38:39], v[40:41]
	v_add_f64 v[74:75], v[12:13], v[0:1]
	;; [unrolled: 1-line block ×7, first 2 shown]
	v_mul_f64 v[100:101], v[10:11], s[18:19]
	v_mul_f64 v[96:97], v[49:50], s[14:15]
	;; [unrolled: 1-line block ×12, first 2 shown]
	v_add_f64 v[12:13], v[12:13], v[45:46]
	v_mul_f64 v[44:45], v[55:56], s[18:19]
	v_mul_f64 v[106:107], v[49:50], s[20:21]
	v_add_f64 v[30:31], v[30:31], v[40:41]
	v_mul_f64 v[40:41], v[59:60], s[18:19]
	s_mov_b32 s19, 0xbfed1bb4
	v_mul_f64 v[114:115], v[61:62], s[20:21]
	v_mul_f64 v[108:109], v[49:50], s[24:25]
	;; [unrolled: 1-line block ×20, first 2 shown]
	v_fma_f64 v[160:161], v[74:75], s[0:1], v[100:101]
	v_fma_f64 v[158:159], v[32:33], s[2:3], v[96:97]
	v_fma_f64 v[96:97], v[32:33], s[2:3], -v[96:97]
	v_fma_f64 v[170:171], v[76:77], s[2:3], -v[112:113]
	v_fma_f64 v[112:113], v[76:77], s[2:3], v[112:113]
	v_fma_f64 v[164:165], v[76:77], s[4:5], -v[110:111]
	v_fma_f64 v[110:111], v[76:77], s[4:5], v[110:111]
	v_fma_f64 v[156:157], v[32:33], s[4:5], v[88:89]
	v_fma_f64 v[100:101], v[74:75], s[0:1], -v[100:101]
	v_mul_f64 v[142:143], v[51:52], s[24:25]
	v_fma_f64 v[162:163], v[74:75], s[4:5], v[102:103]
	v_fma_f64 v[102:103], v[74:75], s[4:5], -v[102:103]
	v_add_f64 v[12:13], v[28:29], v[12:13]
	v_mul_f64 v[28:29], v[70:71], s[18:19]
	v_fma_f64 v[70:71], v[74:75], s[2:3], v[86:87]
	v_add_f64 v[26:27], v[26:27], v[30:31]
	v_fma_f64 v[30:31], v[32:33], s[4:5], -v[88:89]
	v_fma_f64 v[86:87], v[74:75], s[2:3], -v[86:87]
	v_fma_f64 v[88:89], v[74:75], s[6:7], v[94:95]
	v_fma_f64 v[94:95], v[74:75], s[6:7], -v[94:95]
	v_fma_f64 v[166:167], v[74:75], s[10:11], v[10:11]
	;; [unrolled: 2-line block ×3, first 2 shown]
	v_fma_f64 v[106:107], v[32:33], s[10:11], -v[106:107]
	v_fma_f64 v[172:173], v[76:77], s[10:11], -v[114:115]
	v_fma_f64 v[114:115], v[76:77], s[10:11], v[114:115]
	v_fma_f64 v[168:169], v[32:33], s[6:7], v[108:109]
	v_fma_f64 v[108:109], v[32:33], s[6:7], -v[108:109]
	v_fma_f64 v[174:175], v[76:77], s[6:7], -v[116:117]
	v_fma_f64 v[116:117], v[76:77], s[6:7], v[116:117]
	v_fma_f64 v[180:181], v[32:33], s[0:1], v[49:50]
	v_fma_f64 v[32:33], v[32:33], s[0:1], -v[49:50]
	v_fma_f64 v[182:183], v[42:43], s[2:3], v[124:125]
	v_fma_f64 v[49:50], v[42:43], s[10:11], -v[120:121]
	v_fma_f64 v[184:185], v[38:39], s[6:7], -v[126:127]
	v_fma_f64 v[176:177], v[42:43], s[6:7], v[118:119]
	v_fma_f64 v[118:119], v[42:43], s[6:7], -v[118:119]
	v_fma_f64 v[178:179], v[42:43], s[10:11], v[120:121]
	v_fma_f64 v[120:121], v[42:43], s[4:5], v[122:123]
	v_fma_f64 v[122:123], v[42:43], s[4:5], -v[122:123]
	v_add_f64 v[96:97], v[20:21], v[96:97]
	v_add_f64 v[170:171], v[36:37], v[170:171]
	;; [unrolled: 1-line block ×3, first 2 shown]
	v_fma_f64 v[186:187], v[38:39], s[2:3], -v[132:133]
	v_fma_f64 v[132:133], v[38:39], s[2:3], v[132:133]
	v_fma_f64 v[188:189], v[42:43], s[0:1], v[68:69]
	v_add_f64 v[156:157], v[20:21], v[156:157]
	v_add_f64 v[164:165], v[36:37], v[164:165]
	;; [unrolled: 1-line block ×3, first 2 shown]
	v_mul_f64 v[144:145], v[53:54], s[24:25]
	v_add_f64 v[12:13], v[24:25], v[12:13]
	v_fma_f64 v[24:25], v[42:43], s[2:3], -v[124:125]
	v_fma_f64 v[124:125], v[76:77], s[0:1], v[61:62]
	v_fma_f64 v[61:62], v[76:77], s[0:1], -v[61:62]
	v_add_f64 v[22:23], v[22:23], v[26:27]
	v_fma_f64 v[26:27], v[38:39], s[6:7], v[126:127]
	v_fma_f64 v[76:77], v[38:39], s[10:11], -v[128:129]
	v_fma_f64 v[126:127], v[38:39], s[10:11], v[128:129]
	v_fma_f64 v[128:129], v[38:39], s[4:5], -v[130:131]
	;; [unrolled: 2-line block ×3, first 2 shown]
	v_fma_f64 v[68:69], v[38:39], s[0:1], -v[28:29]
	v_add_f64 v[30:31], v[20:21], v[30:31]
	v_fma_f64 v[28:29], v[38:39], s[0:1], v[28:29]
	v_add_f64 v[38:39], v[36:37], v[110:111]
	v_add_f64 v[106:107], v[20:21], v[106:107]
	;; [unrolled: 1-line block ×10, first 2 shown]
	v_fma_f64 v[32:33], v[84:85], s[6:7], -v[136:137]
	v_fma_f64 v[136:137], v[84:85], s[6:7], v[136:137]
	v_fma_f64 v[110:111], v[84:85], s[2:3], -v[134:135]
	v_fma_f64 v[134:135], v[84:85], s[2:3], v[134:135]
	v_add_f64 v[49:50], v[49:50], v[96:97]
	v_mul_f64 v[146:147], v[51:52], s[22:23]
	v_mul_f64 v[148:149], v[53:54], s[22:23]
	v_mul_f64 v[51:52], v[51:52], s[14:15]
	v_mul_f64 v[53:54], v[53:54], s[14:15]
	v_mul_f64 v[150:151], v[55:56], s[20:21]
	v_add_f64 v[156:157], v[176:177], v[156:157]
	v_add_f64 v[164:165], v[184:185], v[164:165]
	;; [unrolled: 1-line block ×3, first 2 shown]
	v_fma_f64 v[178:179], v[72:73], s[4:5], v[98:99]
	v_add_f64 v[12:13], v[34:35], v[12:13]
	v_fma_f64 v[34:35], v[84:85], s[0:1], -v[40:41]
	v_add_f64 v[124:125], v[36:37], v[124:125]
	v_add_f64 v[61:62], v[36:37], v[61:62]
	;; [unrolled: 1-line block ×6, first 2 shown]
	v_fma_f64 v[40:41], v[84:85], s[0:1], v[40:41]
	v_fma_f64 v[22:23], v[84:85], s[4:5], -v[138:139]
	v_fma_f64 v[138:139], v[84:85], s[4:5], v[138:139]
	v_fma_f64 v[174:175], v[84:85], s[10:11], -v[59:60]
	v_add_f64 v[30:31], v[118:119], v[30:31]
	v_fma_f64 v[59:60], v[84:85], s[10:11], v[59:60]
	v_add_f64 v[26:27], v[26:27], v[38:39]
	v_add_f64 v[106:107], v[122:123], v[106:107]
	v_add_f64 v[112:113], v[128:129], v[172:173]
	v_add_f64 v[114:115], v[130:131], v[114:115]
	v_add_f64 v[74:75], v[120:121], v[74:75]
	v_add_f64 v[120:121], v[188:189], v[168:169]
	v_add_f64 v[42:43], v[42:43], v[108:109]
	v_add_f64 v[108:109], v[182:183], v[180:181]
	v_add_f64 v[20:21], v[24:25], v[20:21]
	v_add_f64 v[28:29], v[28:29], v[116:117]
	v_fma_f64 v[170:171], v[78:79], s[4:5], -v[140:141]
	v_fma_f64 v[98:99], v[72:73], s[4:5], -v[98:99]
	v_fma_f64 v[140:141], v[78:79], s[4:5], v[140:141]
	v_mul_f64 v[152:153], v[57:58], s[20:21]
	v_add_f64 v[49:50], v[94:95], v[49:50]
	v_fma_f64 v[118:119], v[72:73], s[0:1], v[90:91]
	v_fma_f64 v[38:39], v[78:79], s[0:1], -v[92:93]
	v_fma_f64 v[90:91], v[72:73], s[0:1], -v[90:91]
	v_fma_f64 v[92:93], v[78:79], s[0:1], v[92:93]
	v_mul_f64 v[154:155], v[55:56], s[14:15]
	v_add_f64 v[70:71], v[70:71], v[156:157]
	v_add_f64 v[110:111], v[110:111], v[164:165]
	v_mul_f64 v[176:177], v[55:56], s[12:13]
	v_mul_f64 v[55:56], v[55:56], s[16:17]
	v_add_f64 v[6:7], v[6:7], v[12:13]
	v_mul_f64 v[84:85], v[57:58], s[14:15]
	v_add_f64 v[24:25], v[132:133], v[124:125]
	v_add_f64 v[61:62], v[186:187], v[61:62]
	;; [unrolled: 1-line block ×6, first 2 shown]
	v_fma_f64 v[36:37], v[78:79], s[6:7], -v[144:145]
	v_fma_f64 v[68:69], v[72:73], s[6:7], -v[142:143]
	v_fma_f64 v[116:117], v[78:79], s[6:7], v[144:145]
	v_mul_f64 v[184:185], v[57:58], s[12:13]
	v_add_f64 v[30:31], v[86:87], v[30:31]
	v_add_f64 v[86:87], v[88:89], v[158:159]
	;; [unrolled: 1-line block ×6, first 2 shown]
	v_mul_f64 v[57:58], v[57:58], s[16:17]
	v_fma_f64 v[18:19], v[72:73], s[6:7], v[142:143]
	v_fma_f64 v[122:123], v[72:73], s[10:11], v[146:147]
	v_fma_f64 v[126:127], v[72:73], s[10:11], -v[146:147]
	v_fma_f64 v[128:129], v[78:79], s[10:11], v[148:149]
	v_fma_f64 v[130:131], v[72:73], s[2:3], v[51:52]
	v_fma_f64 v[51:52], v[72:73], s[2:3], -v[51:52]
	v_fma_f64 v[72:73], v[78:79], s[2:3], -v[53:54]
	v_fma_f64 v[53:54], v[78:79], s[2:3], v[53:54]
	v_add_f64 v[28:29], v[59:60], v[28:29]
	v_add_f64 v[20:21], v[102:103], v[20:21]
	;; [unrolled: 1-line block ×3, first 2 shown]
	v_fma_f64 v[124:125], v[78:79], s[10:11], -v[148:149]
	v_add_f64 v[10:11], v[10:11], v[42:43]
	v_add_f64 v[42:43], v[162:163], v[108:109]
	;; [unrolled: 1-line block ×3, first 2 shown]
	v_fma_f64 v[59:60], v[82:83], s[0:1], v[104:105]
	v_add_f64 v[49:50], v[98:99], v[49:50]
	v_fma_f64 v[142:143], v[80:81], s[10:11], -v[150:151]
	v_fma_f64 v[144:145], v[82:83], s[10:11], v[152:153]
	v_add_f64 v[0:1], v[0:1], v[6:7]
	v_fma_f64 v[78:79], v[80:81], s[10:11], v[150:151]
	v_add_f64 v[24:25], v[138:139], v[24:25]
	v_add_f64 v[22:23], v[22:23], v[61:62]
	;; [unrolled: 1-line block ×4, first 2 shown]
	v_fma_f64 v[14:15], v[80:81], s[0:1], v[44:45]
	v_fma_f64 v[16:17], v[82:83], s[0:1], -v[104:105]
	v_fma_f64 v[44:45], v[80:81], s[0:1], -v[44:45]
	v_add_f64 v[32:33], v[170:171], v[32:33]
	v_add_f64 v[76:77], v[140:141], v[76:77]
	v_fma_f64 v[132:133], v[82:83], s[10:11], -v[152:153]
	v_add_f64 v[30:31], v[90:91], v[30:31]
	v_add_f64 v[70:71], v[118:119], v[70:71]
	;; [unrolled: 1-line block ×4, first 2 shown]
	v_fma_f64 v[61:62], v[80:81], s[2:3], v[154:155]
	v_fma_f64 v[100:101], v[80:81], s[2:3], -v[154:155]
	v_fma_f64 v[102:103], v[80:81], s[6:7], v[176:177]
	v_fma_f64 v[106:107], v[80:81], s[6:7], -v[176:177]
	;; [unrolled: 2-line block ×3, first 2 shown]
	v_add_f64 v[80:81], v[178:179], v[86:87]
	v_fma_f64 v[96:97], v[82:83], s[2:3], -v[84:85]
	v_fma_f64 v[84:85], v[82:83], s[2:3], v[84:85]
	v_add_f64 v[34:35], v[36:37], v[34:35]
	v_add_f64 v[36:37], v[68:69], v[88:89]
	v_add_f64 v[40:41], v[116:117], v[40:41]
	v_fma_f64 v[104:105], v[82:83], s[6:7], -v[184:185]
	v_fma_f64 v[108:109], v[82:83], s[6:7], v[184:185]
	v_fma_f64 v[114:115], v[82:83], s[4:5], -v[57:58]
	v_fma_f64 v[57:58], v[82:83], s[4:5], v[57:58]
	v_add_f64 v[28:29], v[53:54], v[28:29]
	v_add_f64 v[53:54], v[126:127], v[20:21]
	;; [unrolled: 1-line block ×29, first 2 shown]
	v_lshlrev_b64 v[0:1], 4, v[66:67]
	v_add_f64 v[36:37], v[108:109], v[82:83]
	v_add_f64 v[40:41], v[104:105], v[86:87]
	;; [unrolled: 1-line block ×4, first 2 shown]
	v_add_co_u32 v2, vcc_lo, s8, v64
	v_add_co_ci_u32_e32 v3, vcc_lo, s9, v65, vcc_lo
	s_delay_alu instid0(VALU_DEP_2) | instskip(NEXT) | instid1(VALU_DEP_2)
	v_add_co_u32 v0, vcc_lo, v2, v0
	v_add_co_ci_u32_e32 v1, vcc_lo, v3, v1, vcc_lo
	s_delay_alu instid0(VALU_DEP_2) | instskip(NEXT) | instid1(VALU_DEP_2)
	v_add_co_u32 v2, vcc_lo, 0x1000, v0
	v_add_co_ci_u32_e32 v3, vcc_lo, 0, v1, vcc_lo
	s_clause 0xa
	global_store_b128 v[0:1], v[16:19], off offset:2112
	global_store_b128 v[0:1], v[8:11], off offset:2640
	;; [unrolled: 1-line block ×9, first 2 shown]
	global_store_b128 v[0:1], v[44:47], off
	global_store_b128 v[2:3], v[28:31], off offset:1184
.LBB0_20:
	s_nop 0
	s_sendmsg sendmsg(MSG_DEALLOC_VGPRS)
	s_endpgm
	.section	.rodata,"a",@progbits
	.p2align	6, 0x0
	.amdhsa_kernel fft_rtc_back_len363_factors_11_3_11_wgs_99_tpt_33_halfLds_dp_ip_CI_unitstride_sbrr_dirReg
		.amdhsa_group_segment_fixed_size 0
		.amdhsa_private_segment_fixed_size 0
		.amdhsa_kernarg_size 88
		.amdhsa_user_sgpr_count 15
		.amdhsa_user_sgpr_dispatch_ptr 0
		.amdhsa_user_sgpr_queue_ptr 0
		.amdhsa_user_sgpr_kernarg_segment_ptr 1
		.amdhsa_user_sgpr_dispatch_id 0
		.amdhsa_user_sgpr_private_segment_size 0
		.amdhsa_wavefront_size32 1
		.amdhsa_uses_dynamic_stack 0
		.amdhsa_enable_private_segment 0
		.amdhsa_system_sgpr_workgroup_id_x 1
		.amdhsa_system_sgpr_workgroup_id_y 0
		.amdhsa_system_sgpr_workgroup_id_z 0
		.amdhsa_system_sgpr_workgroup_info 0
		.amdhsa_system_vgpr_workitem_id 0
		.amdhsa_next_free_vgpr 190
		.amdhsa_next_free_sgpr 36
		.amdhsa_reserve_vcc 1
		.amdhsa_float_round_mode_32 0
		.amdhsa_float_round_mode_16_64 0
		.amdhsa_float_denorm_mode_32 3
		.amdhsa_float_denorm_mode_16_64 3
		.amdhsa_dx10_clamp 1
		.amdhsa_ieee_mode 1
		.amdhsa_fp16_overflow 0
		.amdhsa_workgroup_processor_mode 1
		.amdhsa_memory_ordered 1
		.amdhsa_forward_progress 0
		.amdhsa_shared_vgpr_count 0
		.amdhsa_exception_fp_ieee_invalid_op 0
		.amdhsa_exception_fp_denorm_src 0
		.amdhsa_exception_fp_ieee_div_zero 0
		.amdhsa_exception_fp_ieee_overflow 0
		.amdhsa_exception_fp_ieee_underflow 0
		.amdhsa_exception_fp_ieee_inexact 0
		.amdhsa_exception_int_div_zero 0
	.end_amdhsa_kernel
	.text
.Lfunc_end0:
	.size	fft_rtc_back_len363_factors_11_3_11_wgs_99_tpt_33_halfLds_dp_ip_CI_unitstride_sbrr_dirReg, .Lfunc_end0-fft_rtc_back_len363_factors_11_3_11_wgs_99_tpt_33_halfLds_dp_ip_CI_unitstride_sbrr_dirReg
                                        ; -- End function
	.section	.AMDGPU.csdata,"",@progbits
; Kernel info:
; codeLenInByte = 9496
; NumSgprs: 38
; NumVgprs: 190
; ScratchSize: 0
; MemoryBound: 1
; FloatMode: 240
; IeeeMode: 1
; LDSByteSize: 0 bytes/workgroup (compile time only)
; SGPRBlocks: 4
; VGPRBlocks: 23
; NumSGPRsForWavesPerEU: 38
; NumVGPRsForWavesPerEU: 190
; Occupancy: 8
; WaveLimiterHint : 1
; COMPUTE_PGM_RSRC2:SCRATCH_EN: 0
; COMPUTE_PGM_RSRC2:USER_SGPR: 15
; COMPUTE_PGM_RSRC2:TRAP_HANDLER: 0
; COMPUTE_PGM_RSRC2:TGID_X_EN: 1
; COMPUTE_PGM_RSRC2:TGID_Y_EN: 0
; COMPUTE_PGM_RSRC2:TGID_Z_EN: 0
; COMPUTE_PGM_RSRC2:TIDIG_COMP_CNT: 0
	.text
	.p2alignl 7, 3214868480
	.fill 96, 4, 3214868480
	.type	__hip_cuid_3b9f73556840499f,@object ; @__hip_cuid_3b9f73556840499f
	.section	.bss,"aw",@nobits
	.globl	__hip_cuid_3b9f73556840499f
__hip_cuid_3b9f73556840499f:
	.byte	0                               ; 0x0
	.size	__hip_cuid_3b9f73556840499f, 1

	.ident	"AMD clang version 19.0.0git (https://github.com/RadeonOpenCompute/llvm-project roc-6.4.0 25133 c7fe45cf4b819c5991fe208aaa96edf142730f1d)"
	.section	".note.GNU-stack","",@progbits
	.addrsig
	.addrsig_sym __hip_cuid_3b9f73556840499f
	.amdgpu_metadata
---
amdhsa.kernels:
  - .args:
      - .actual_access:  read_only
        .address_space:  global
        .offset:         0
        .size:           8
        .value_kind:     global_buffer
      - .offset:         8
        .size:           8
        .value_kind:     by_value
      - .actual_access:  read_only
        .address_space:  global
        .offset:         16
        .size:           8
        .value_kind:     global_buffer
      - .actual_access:  read_only
        .address_space:  global
        .offset:         24
        .size:           8
        .value_kind:     global_buffer
      - .offset:         32
        .size:           8
        .value_kind:     by_value
      - .actual_access:  read_only
        .address_space:  global
        .offset:         40
        .size:           8
        .value_kind:     global_buffer
      - .actual_access:  read_only
        .address_space:  global
        .offset:         48
        .size:           8
        .value_kind:     global_buffer
      - .offset:         56
        .size:           4
        .value_kind:     by_value
      - .actual_access:  read_only
        .address_space:  global
        .offset:         64
        .size:           8
        .value_kind:     global_buffer
      - .actual_access:  read_only
        .address_space:  global
        .offset:         72
        .size:           8
        .value_kind:     global_buffer
      - .address_space:  global
        .offset:         80
        .size:           8
        .value_kind:     global_buffer
    .group_segment_fixed_size: 0
    .kernarg_segment_align: 8
    .kernarg_segment_size: 88
    .language:       OpenCL C
    .language_version:
      - 2
      - 0
    .max_flat_workgroup_size: 99
    .name:           fft_rtc_back_len363_factors_11_3_11_wgs_99_tpt_33_halfLds_dp_ip_CI_unitstride_sbrr_dirReg
    .private_segment_fixed_size: 0
    .sgpr_count:     38
    .sgpr_spill_count: 0
    .symbol:         fft_rtc_back_len363_factors_11_3_11_wgs_99_tpt_33_halfLds_dp_ip_CI_unitstride_sbrr_dirReg.kd
    .uniform_work_group_size: 1
    .uses_dynamic_stack: false
    .vgpr_count:     190
    .vgpr_spill_count: 0
    .wavefront_size: 32
    .workgroup_processor_mode: 1
amdhsa.target:   amdgcn-amd-amdhsa--gfx1100
amdhsa.version:
  - 1
  - 2
...

	.end_amdgpu_metadata
